;; amdgpu-corpus repo=zjin-lcf/HeCBench kind=compiled arch=gfx906 opt=O3
	.amdgcn_target "amdgcn-amd-amdhsa--gfx906"
	.amdhsa_code_object_version 6
	.text
	.protected	_Z14damage_of_nodeiPKiS0_PiPd ; -- Begin function _Z14damage_of_nodeiPKiS0_PiPd
	.globl	_Z14damage_of_nodeiPKiS0_PiPd
	.p2align	8
	.type	_Z14damage_of_nodeiPKiS0_PiPd,@function
_Z14damage_of_nodeiPKiS0_PiPd:          ; @_Z14damage_of_nodeiPKiS0_PiPd
; %bb.0:
	s_load_dword s0, s[4:5], 0x34
	s_load_dword s1, s[4:5], 0x0
	v_mov_b32_e32 v2, 0
	s_waitcnt lgkmcnt(0)
	s_and_b32 s2, s0, 0xffff
	s_mul_i32 s0, s6, s2
	v_add_u32_e32 v1, s0, v0
	v_cmp_gt_i32_e32 vcc, s1, v1
	s_and_saveexec_b64 s[0:1], vcc
	s_cbranch_execz .LBB0_2
; %bb.1:
	s_load_dwordx2 s[8:9], s[4:5], 0x8
	v_ashrrev_i32_e32 v2, 31, v1
	v_lshlrev_b64 v[1:2], 2, v[1:2]
	s_waitcnt lgkmcnt(0)
	v_mov_b32_e32 v3, s9
	v_add_co_u32_e32 v1, vcc, s8, v1
	v_addc_co_u32_e32 v2, vcc, v3, v2, vcc
	global_load_dword v1, v[1:2], off
	s_waitcnt vmcnt(0)
	v_cmp_ne_u32_e32 vcc, -1, v1
	v_cndmask_b32_e64 v2, 0, 1, vcc
.LBB0_2:
	s_or_b64 exec, exec, s[0:1]
	v_lshl_add_u32 v1, v0, 2, 0
	s_cmp_lt_u32 s2, 2
	ds_write_b32 v1, v2
	s_waitcnt lgkmcnt(0)
	s_barrier
	s_cbranch_scc0 .LBB0_7
.LBB0_3:
	v_cmp_eq_u32_e32 vcc, 0, v0
	s_and_saveexec_b64 s[0:1], vcc
	s_cbranch_execz .LBB0_5
; %bb.4:
	s_load_dwordx4 s[0:3], s[4:5], 0x10
	s_load_dwordx2 s[8:9], s[4:5], 0x20
	s_ashr_i32 s7, s6, 31
	s_lshl_b64 s[4:5], s[6:7], 2
	v_mov_b32_e32 v12, 0
	s_waitcnt lgkmcnt(0)
	s_add_u32 s2, s2, s4
	s_addc_u32 s3, s3, s5
	s_add_u32 s0, s0, s4
	s_addc_u32 s1, s1, s5
	ds_read_b32 v13, v12
	s_load_dword s0, s[0:1], 0x0
	s_waitcnt lgkmcnt(0)
	v_cvt_f64_i32_e32 v[0:1], v13
	v_cvt_f64_i32_e32 v[2:3], s0
	global_store_dword v12, v13, s[2:3]
	v_div_scale_f64 v[4:5], s[0:1], v[2:3], v[2:3], v[0:1]
	v_div_scale_f64 v[10:11], vcc, v[0:1], v[2:3], v[0:1]
	s_lshl_b64 s[0:1], s[6:7], 3
	s_add_u32 s0, s8, s0
	s_addc_u32 s1, s9, s1
	v_rcp_f64_e32 v[6:7], v[4:5]
	v_fma_f64 v[8:9], -v[4:5], v[6:7], 1.0
	v_fma_f64 v[6:7], v[6:7], v[8:9], v[6:7]
	v_fma_f64 v[8:9], -v[4:5], v[6:7], 1.0
	v_fma_f64 v[6:7], v[6:7], v[8:9], v[6:7]
	v_mul_f64 v[8:9], v[10:11], v[6:7]
	v_fma_f64 v[4:5], -v[4:5], v[8:9], v[10:11]
	v_div_fmas_f64 v[4:5], v[4:5], v[6:7], v[8:9]
	v_div_fixup_f64 v[0:1], v[4:5], v[2:3], v[0:1]
	v_add_f64 v[0:1], -v[0:1], 1.0
	global_store_dwordx2 v12, v[0:1], s[0:1]
.LBB0_5:
	s_endpgm
.LBB0_6:                                ;   in Loop: Header=BB0_7 Depth=1
	s_or_b64 exec, exec, s[0:1]
	s_cmp_lt_u32 s2, 4
	s_mov_b32 s2, s3
	s_waitcnt lgkmcnt(0)
	s_barrier
	s_cbranch_scc1 .LBB0_3
.LBB0_7:                                ; =>This Inner Loop Header: Depth=1
	s_lshr_b32 s3, s2, 1
	v_cmp_gt_u32_e32 vcc, s3, v0
	s_and_saveexec_b64 s[0:1], vcc
	s_cbranch_execz .LBB0_6
; %bb.8:                                ;   in Loop: Header=BB0_7 Depth=1
	v_lshl_add_u32 v2, s3, 2, v1
	ds_read_b32 v2, v2
	ds_read_b32 v3, v1
	s_waitcnt lgkmcnt(0)
	v_add_u32_e32 v2, v3, v2
	ds_write_b32 v1, v2
	s_branch .LBB0_6
	.section	.rodata,"a",@progbits
	.p2align	6, 0x0
	.amdhsa_kernel _Z14damage_of_nodeiPKiS0_PiPd
		.amdhsa_group_segment_fixed_size 0
		.amdhsa_private_segment_fixed_size 0
		.amdhsa_kernarg_size 296
		.amdhsa_user_sgpr_count 6
		.amdhsa_user_sgpr_private_segment_buffer 1
		.amdhsa_user_sgpr_dispatch_ptr 0
		.amdhsa_user_sgpr_queue_ptr 0
		.amdhsa_user_sgpr_kernarg_segment_ptr 1
		.amdhsa_user_sgpr_dispatch_id 0
		.amdhsa_user_sgpr_flat_scratch_init 0
		.amdhsa_user_sgpr_private_segment_size 0
		.amdhsa_uses_dynamic_stack 0
		.amdhsa_system_sgpr_private_segment_wavefront_offset 0
		.amdhsa_system_sgpr_workgroup_id_x 1
		.amdhsa_system_sgpr_workgroup_id_y 0
		.amdhsa_system_sgpr_workgroup_id_z 0
		.amdhsa_system_sgpr_workgroup_info 0
		.amdhsa_system_vgpr_workitem_id 0
		.amdhsa_next_free_vgpr 14
		.amdhsa_next_free_sgpr 10
		.amdhsa_reserve_vcc 1
		.amdhsa_reserve_flat_scratch 0
		.amdhsa_float_round_mode_32 0
		.amdhsa_float_round_mode_16_64 0
		.amdhsa_float_denorm_mode_32 3
		.amdhsa_float_denorm_mode_16_64 3
		.amdhsa_dx10_clamp 1
		.amdhsa_ieee_mode 1
		.amdhsa_fp16_overflow 0
		.amdhsa_exception_fp_ieee_invalid_op 0
		.amdhsa_exception_fp_denorm_src 0
		.amdhsa_exception_fp_ieee_div_zero 0
		.amdhsa_exception_fp_ieee_overflow 0
		.amdhsa_exception_fp_ieee_underflow 0
		.amdhsa_exception_fp_ieee_inexact 0
		.amdhsa_exception_int_div_zero 0
	.end_amdhsa_kernel
	.text
.Lfunc_end0:
	.size	_Z14damage_of_nodeiPKiS0_PiPd, .Lfunc_end0-_Z14damage_of_nodeiPKiS0_PiPd
                                        ; -- End function
	.set _Z14damage_of_nodeiPKiS0_PiPd.num_vgpr, 14
	.set _Z14damage_of_nodeiPKiS0_PiPd.num_agpr, 0
	.set _Z14damage_of_nodeiPKiS0_PiPd.numbered_sgpr, 10
	.set _Z14damage_of_nodeiPKiS0_PiPd.num_named_barrier, 0
	.set _Z14damage_of_nodeiPKiS0_PiPd.private_seg_size, 0
	.set _Z14damage_of_nodeiPKiS0_PiPd.uses_vcc, 1
	.set _Z14damage_of_nodeiPKiS0_PiPd.uses_flat_scratch, 0
	.set _Z14damage_of_nodeiPKiS0_PiPd.has_dyn_sized_stack, 0
	.set _Z14damage_of_nodeiPKiS0_PiPd.has_recursion, 0
	.set _Z14damage_of_nodeiPKiS0_PiPd.has_indirect_call, 0
	.section	.AMDGPU.csdata,"",@progbits
; Kernel info:
; codeLenInByte = 444
; TotalNumSgprs: 14
; NumVgprs: 14
; ScratchSize: 0
; MemoryBound: 0
; FloatMode: 240
; IeeeMode: 1
; LDSByteSize: 0 bytes/workgroup (compile time only)
; SGPRBlocks: 1
; VGPRBlocks: 3
; NumSGPRsForWavesPerEU: 14
; NumVGPRsForWavesPerEU: 14
; Occupancy: 10
; WaveLimiterHint : 0
; COMPUTE_PGM_RSRC2:SCRATCH_EN: 0
; COMPUTE_PGM_RSRC2:USER_SGPR: 6
; COMPUTE_PGM_RSRC2:TRAP_HANDLER: 0
; COMPUTE_PGM_RSRC2:TGID_X_EN: 1
; COMPUTE_PGM_RSRC2:TGID_Y_EN: 0
; COMPUTE_PGM_RSRC2:TGID_Z_EN: 0
; COMPUTE_PGM_RSRC2:TIDIG_COMP_CNT: 0
	.text
	.protected	_Z24damage_of_node_optimizediPKiS0_PiPd ; -- Begin function _Z24damage_of_node_optimizediPKiS0_PiPd
	.globl	_Z24damage_of_node_optimizediPKiS0_PiPd
	.p2align	8
	.type	_Z24damage_of_node_optimizediPKiS0_PiPd,@function
_Z24damage_of_node_optimizediPKiS0_PiPd: ; @_Z24damage_of_node_optimizediPKiS0_PiPd
; %bb.0:
	s_load_dword s0, s[4:5], 0x34
	s_load_dword s1, s[4:5], 0x0
	v_mov_b32_e32 v3, 0
	s_waitcnt lgkmcnt(0)
	s_and_b32 s0, s0, 0xffff
	s_mul_i32 s0, s6, s0
	v_add_u32_e32 v1, s0, v0
	v_cmp_gt_i32_e32 vcc, s1, v1
	s_and_saveexec_b64 s[0:1], vcc
	s_cbranch_execz .LBB1_2
; %bb.1:
	s_load_dwordx2 s[2:3], s[4:5], 0x8
	v_ashrrev_i32_e32 v2, 31, v1
	v_lshlrev_b64 v[1:2], 2, v[1:2]
	s_waitcnt lgkmcnt(0)
	v_mov_b32_e32 v3, s3
	v_add_co_u32_e32 v1, vcc, s2, v1
	v_addc_co_u32_e32 v2, vcc, v3, v2, vcc
	global_load_dword v1, v[1:2], off
	s_waitcnt vmcnt(0)
	v_cmp_ne_u32_e32 vcc, -1, v1
	v_cndmask_b32_e64 v3, 0, 1, vcc
.LBB1_2:
	s_or_b64 exec, exec, s[0:1]
	v_mbcnt_lo_u32_b32 v1, -1, 0
	v_mbcnt_hi_u32_b32 v2, -1, v1
	v_cmp_eq_u32_e32 vcc, 0, v2
	v_add_u32_dpp v1, v3, v3 quad_perm:[1,0,3,2] row_mask:0xf bank_mask:0xf bound_ctrl:1
	v_lshlrev_b32_e32 v3, 2, v2
	v_or_b32_e32 v4, 0xfc, v3
	v_add_u32_dpp v1, v1, v1 quad_perm:[2,3,0,1] row_mask:0xf bank_mask:0xf bound_ctrl:1
	s_nop 1
	v_add_u32_dpp v1, v1, v1 row_ror:4 row_mask:0xf bank_mask:0xf bound_ctrl:1
	s_nop 1
	v_add_u32_dpp v1, v1, v1 row_ror:8 row_mask:0xf bank_mask:0xf bound_ctrl:1
	s_nop 1
	v_add_u32_dpp v1, v1, v1 row_bcast:15 row_mask:0xf bank_mask:0xf bound_ctrl:1
	s_nop 1
	v_add_u32_dpp v1, v1, v1 row_bcast:31 row_mask:0xf bank_mask:0xf bound_ctrl:1
	ds_bpermute_b32 v1, v4, v1
	s_and_saveexec_b64 s[0:1], vcc
	s_cbranch_execz .LBB1_4
; %bb.3:
	v_lshrrev_b32_e32 v4, 4, v0
	v_and_b32_e32 v4, 60, v4
	s_waitcnt lgkmcnt(0)
	ds_write_b32 v4, v1
.LBB1_4:
	s_or_b64 exec, exec, s[0:1]
	v_cmp_gt_u32_e32 vcc, 64, v0
	s_waitcnt lgkmcnt(0)
	s_barrier
	s_and_saveexec_b64 s[0:1], vcc
	s_cbranch_execnz .LBB1_7
; %bb.5:
	s_or_b64 exec, exec, s[0:1]
	v_cmp_eq_u32_e32 vcc, 0, v0
	s_and_saveexec_b64 s[0:1], vcc
	s_cbranch_execnz .LBB1_8
.LBB1_6:
	s_endpgm
.LBB1_7:
	v_and_b32_e32 v1, 3, v2
	v_lshlrev_b32_e32 v4, 2, v1
	ds_read_b32 v4, v4
	v_cmp_ne_u32_e32 vcc, 3, v1
	v_addc_co_u32_e32 v1, vcc, 0, v2, vcc
	v_lshlrev_b32_e32 v1, 2, v1
	s_waitcnt lgkmcnt(0)
	ds_bpermute_b32 v1, v1, v4
	v_or_b32_e32 v2, 8, v3
	s_waitcnt lgkmcnt(0)
	v_add_u32_e32 v1, v1, v4
	ds_bpermute_b32 v2, v2, v1
	s_waitcnt lgkmcnt(0)
	v_add_u32_e32 v1, v2, v1
	s_or_b64 exec, exec, s[0:1]
	v_cmp_eq_u32_e32 vcc, 0, v0
	s_and_saveexec_b64 s[0:1], vcc
	s_cbranch_execz .LBB1_6
.LBB1_8:
	s_load_dwordx4 s[0:3], s[4:5], 0x10
	s_load_dwordx2 s[8:9], s[4:5], 0x20
	s_ashr_i32 s7, s6, 31
	s_lshl_b64 s[4:5], s[6:7], 2
	v_cvt_f64_i32_e32 v[2:3], v1
	s_waitcnt lgkmcnt(0)
	s_add_u32 s2, s2, s4
	s_addc_u32 s3, s3, s5
	s_add_u32 s0, s0, s4
	s_addc_u32 s1, s1, s5
	s_load_dword s0, s[0:1], 0x0
	v_mov_b32_e32 v0, 0
	global_store_dword v0, v1, s[2:3]
	s_waitcnt lgkmcnt(0)
	v_cvt_f64_i32_e32 v[4:5], s0
	v_div_scale_f64 v[6:7], s[0:1], v[4:5], v[4:5], v[2:3]
	v_div_scale_f64 v[12:13], vcc, v[2:3], v[4:5], v[2:3]
	s_lshl_b64 s[0:1], s[6:7], 3
	s_add_u32 s0, s8, s0
	s_addc_u32 s1, s9, s1
	v_rcp_f64_e32 v[8:9], v[6:7]
	v_fma_f64 v[10:11], -v[6:7], v[8:9], 1.0
	v_fma_f64 v[8:9], v[8:9], v[10:11], v[8:9]
	v_fma_f64 v[10:11], -v[6:7], v[8:9], 1.0
	v_fma_f64 v[8:9], v[8:9], v[10:11], v[8:9]
	v_mul_f64 v[10:11], v[12:13], v[8:9]
	v_fma_f64 v[6:7], -v[6:7], v[10:11], v[12:13]
	v_div_fmas_f64 v[6:7], v[6:7], v[8:9], v[10:11]
	v_div_fixup_f64 v[2:3], v[6:7], v[4:5], v[2:3]
	v_add_f64 v[2:3], -v[2:3], 1.0
	global_store_dwordx2 v0, v[2:3], s[0:1]
	s_endpgm
	.section	.rodata,"a",@progbits
	.p2align	6, 0x0
	.amdhsa_kernel _Z24damage_of_node_optimizediPKiS0_PiPd
		.amdhsa_group_segment_fixed_size 16
		.amdhsa_private_segment_fixed_size 0
		.amdhsa_kernarg_size 296
		.amdhsa_user_sgpr_count 6
		.amdhsa_user_sgpr_private_segment_buffer 1
		.amdhsa_user_sgpr_dispatch_ptr 0
		.amdhsa_user_sgpr_queue_ptr 0
		.amdhsa_user_sgpr_kernarg_segment_ptr 1
		.amdhsa_user_sgpr_dispatch_id 0
		.amdhsa_user_sgpr_flat_scratch_init 0
		.amdhsa_user_sgpr_private_segment_size 0
		.amdhsa_uses_dynamic_stack 0
		.amdhsa_system_sgpr_private_segment_wavefront_offset 0
		.amdhsa_system_sgpr_workgroup_id_x 1
		.amdhsa_system_sgpr_workgroup_id_y 0
		.amdhsa_system_sgpr_workgroup_id_z 0
		.amdhsa_system_sgpr_workgroup_info 0
		.amdhsa_system_vgpr_workitem_id 0
		.amdhsa_next_free_vgpr 14
		.amdhsa_next_free_sgpr 10
		.amdhsa_reserve_vcc 1
		.amdhsa_reserve_flat_scratch 0
		.amdhsa_float_round_mode_32 0
		.amdhsa_float_round_mode_16_64 0
		.amdhsa_float_denorm_mode_32 3
		.amdhsa_float_denorm_mode_16_64 3
		.amdhsa_dx10_clamp 1
		.amdhsa_ieee_mode 1
		.amdhsa_fp16_overflow 0
		.amdhsa_exception_fp_ieee_invalid_op 0
		.amdhsa_exception_fp_denorm_src 0
		.amdhsa_exception_fp_ieee_div_zero 0
		.amdhsa_exception_fp_ieee_overflow 0
		.amdhsa_exception_fp_ieee_underflow 0
		.amdhsa_exception_fp_ieee_inexact 0
		.amdhsa_exception_int_div_zero 0
	.end_amdhsa_kernel
	.text
.Lfunc_end1:
	.size	_Z24damage_of_node_optimizediPKiS0_PiPd, .Lfunc_end1-_Z24damage_of_node_optimizediPKiS0_PiPd
                                        ; -- End function
	.set _Z24damage_of_node_optimizediPKiS0_PiPd.num_vgpr, 14
	.set _Z24damage_of_node_optimizediPKiS0_PiPd.num_agpr, 0
	.set _Z24damage_of_node_optimizediPKiS0_PiPd.numbered_sgpr, 10
	.set _Z24damage_of_node_optimizediPKiS0_PiPd.num_named_barrier, 0
	.set _Z24damage_of_node_optimizediPKiS0_PiPd.private_seg_size, 0
	.set _Z24damage_of_node_optimizediPKiS0_PiPd.uses_vcc, 1
	.set _Z24damage_of_node_optimizediPKiS0_PiPd.uses_flat_scratch, 0
	.set _Z24damage_of_node_optimizediPKiS0_PiPd.has_dyn_sized_stack, 0
	.set _Z24damage_of_node_optimizediPKiS0_PiPd.has_recursion, 0
	.set _Z24damage_of_node_optimizediPKiS0_PiPd.has_indirect_call, 0
	.section	.AMDGPU.csdata,"",@progbits
; Kernel info:
; codeLenInByte = 568
; TotalNumSgprs: 14
; NumVgprs: 14
; ScratchSize: 0
; MemoryBound: 0
; FloatMode: 240
; IeeeMode: 1
; LDSByteSize: 16 bytes/workgroup (compile time only)
; SGPRBlocks: 1
; VGPRBlocks: 3
; NumSGPRsForWavesPerEU: 14
; NumVGPRsForWavesPerEU: 14
; Occupancy: 10
; WaveLimiterHint : 0
; COMPUTE_PGM_RSRC2:SCRATCH_EN: 0
; COMPUTE_PGM_RSRC2:USER_SGPR: 6
; COMPUTE_PGM_RSRC2:TRAP_HANDLER: 0
; COMPUTE_PGM_RSRC2:TGID_X_EN: 1
; COMPUTE_PGM_RSRC2:TGID_Y_EN: 0
; COMPUTE_PGM_RSRC2:TGID_Z_EN: 0
; COMPUTE_PGM_RSRC2:TIDIG_COMP_CNT: 0
	.section	.AMDGPU.gpr_maximums,"",@progbits
	.set amdgpu.max_num_vgpr, 0
	.set amdgpu.max_num_agpr, 0
	.set amdgpu.max_num_sgpr, 0
	.section	.AMDGPU.csdata,"",@progbits
	.type	__hip_cuid_3d6a65984cd6b074,@object ; @__hip_cuid_3d6a65984cd6b074
	.section	.bss,"aw",@nobits
	.globl	__hip_cuid_3d6a65984cd6b074
__hip_cuid_3d6a65984cd6b074:
	.byte	0                               ; 0x0
	.size	__hip_cuid_3d6a65984cd6b074, 1

	.ident	"AMD clang version 22.0.0git (https://github.com/RadeonOpenCompute/llvm-project roc-7.2.4 26084 f58b06dce1f9c15707c5f808fd002e18c2accf7e)"
	.section	".note.GNU-stack","",@progbits
	.addrsig
	.addrsig_sym __hip_cuid_3d6a65984cd6b074
	.amdgpu_metadata
---
amdhsa.kernels:
  - .args:
      - .offset:         0
        .size:           4
        .value_kind:     by_value
      - .actual_access:  read_only
        .address_space:  global
        .offset:         8
        .size:           8
        .value_kind:     global_buffer
      - .actual_access:  read_only
        .address_space:  global
        .offset:         16
        .size:           8
        .value_kind:     global_buffer
      - .actual_access:  write_only
        .address_space:  global
        .offset:         24
        .size:           8
        .value_kind:     global_buffer
      - .actual_access:  write_only
        .address_space:  global
        .offset:         32
        .size:           8
        .value_kind:     global_buffer
      - .offset:         40
        .size:           4
        .value_kind:     hidden_block_count_x
      - .offset:         44
        .size:           4
        .value_kind:     hidden_block_count_y
      - .offset:         48
        .size:           4
        .value_kind:     hidden_block_count_z
      - .offset:         52
        .size:           2
        .value_kind:     hidden_group_size_x
      - .offset:         54
        .size:           2
        .value_kind:     hidden_group_size_y
      - .offset:         56
        .size:           2
        .value_kind:     hidden_group_size_z
      - .offset:         58
        .size:           2
        .value_kind:     hidden_remainder_x
      - .offset:         60
        .size:           2
        .value_kind:     hidden_remainder_y
      - .offset:         62
        .size:           2
        .value_kind:     hidden_remainder_z
      - .offset:         80
        .size:           8
        .value_kind:     hidden_global_offset_x
      - .offset:         88
        .size:           8
        .value_kind:     hidden_global_offset_y
      - .offset:         96
        .size:           8
        .value_kind:     hidden_global_offset_z
      - .offset:         104
        .size:           2
        .value_kind:     hidden_grid_dims
      - .offset:         160
        .size:           4
        .value_kind:     hidden_dynamic_lds_size
    .group_segment_fixed_size: 0
    .kernarg_segment_align: 8
    .kernarg_segment_size: 296
    .language:       OpenCL C
    .language_version:
      - 2
      - 0
    .max_flat_workgroup_size: 1024
    .name:           _Z14damage_of_nodeiPKiS0_PiPd
    .private_segment_fixed_size: 0
    .sgpr_count:     14
    .sgpr_spill_count: 0
    .symbol:         _Z14damage_of_nodeiPKiS0_PiPd.kd
    .uniform_work_group_size: 1
    .uses_dynamic_stack: false
    .vgpr_count:     14
    .vgpr_spill_count: 0
    .wavefront_size: 64
  - .args:
      - .offset:         0
        .size:           4
        .value_kind:     by_value
      - .actual_access:  read_only
        .address_space:  global
        .offset:         8
        .size:           8
        .value_kind:     global_buffer
      - .actual_access:  read_only
        .address_space:  global
        .offset:         16
        .size:           8
        .value_kind:     global_buffer
      - .actual_access:  write_only
        .address_space:  global
        .offset:         24
        .size:           8
        .value_kind:     global_buffer
      - .actual_access:  write_only
        .address_space:  global
        .offset:         32
        .size:           8
        .value_kind:     global_buffer
      - .offset:         40
        .size:           4
        .value_kind:     hidden_block_count_x
      - .offset:         44
        .size:           4
        .value_kind:     hidden_block_count_y
      - .offset:         48
        .size:           4
        .value_kind:     hidden_block_count_z
      - .offset:         52
        .size:           2
        .value_kind:     hidden_group_size_x
      - .offset:         54
        .size:           2
        .value_kind:     hidden_group_size_y
      - .offset:         56
        .size:           2
        .value_kind:     hidden_group_size_z
      - .offset:         58
        .size:           2
        .value_kind:     hidden_remainder_x
      - .offset:         60
        .size:           2
        .value_kind:     hidden_remainder_y
      - .offset:         62
        .size:           2
        .value_kind:     hidden_remainder_z
      - .offset:         80
        .size:           8
        .value_kind:     hidden_global_offset_x
      - .offset:         88
        .size:           8
        .value_kind:     hidden_global_offset_y
      - .offset:         96
        .size:           8
        .value_kind:     hidden_global_offset_z
      - .offset:         104
        .size:           2
        .value_kind:     hidden_grid_dims
    .group_segment_fixed_size: 16
    .kernarg_segment_align: 8
    .kernarg_segment_size: 296
    .language:       OpenCL C
    .language_version:
      - 2
      - 0
    .max_flat_workgroup_size: 1024
    .name:           _Z24damage_of_node_optimizediPKiS0_PiPd
    .private_segment_fixed_size: 0
    .sgpr_count:     14
    .sgpr_spill_count: 0
    .symbol:         _Z24damage_of_node_optimizediPKiS0_PiPd.kd
    .uniform_work_group_size: 1
    .uses_dynamic_stack: false
    .vgpr_count:     14
    .vgpr_spill_count: 0
    .wavefront_size: 64
amdhsa.target:   amdgcn-amd-amdhsa--gfx906
amdhsa.version:
  - 1
  - 2
...

	.end_amdgpu_metadata
